;; amdgpu-corpus repo=ROCm/rocFFT kind=compiled arch=gfx1201 opt=O3
	.text
	.amdgcn_target "amdgcn-amd-amdhsa--gfx1201"
	.amdhsa_code_object_version 6
	.protected	fft_rtc_fwd_len189_factors_7_3_3_3_wgs_63_tpt_21_dp_op_CI_CI_unitstride_sbrr_dirReg ; -- Begin function fft_rtc_fwd_len189_factors_7_3_3_3_wgs_63_tpt_21_dp_op_CI_CI_unitstride_sbrr_dirReg
	.globl	fft_rtc_fwd_len189_factors_7_3_3_3_wgs_63_tpt_21_dp_op_CI_CI_unitstride_sbrr_dirReg
	.p2align	8
	.type	fft_rtc_fwd_len189_factors_7_3_3_3_wgs_63_tpt_21_dp_op_CI_CI_unitstride_sbrr_dirReg,@function
fft_rtc_fwd_len189_factors_7_3_3_3_wgs_63_tpt_21_dp_op_CI_CI_unitstride_sbrr_dirReg: ; @fft_rtc_fwd_len189_factors_7_3_3_3_wgs_63_tpt_21_dp_op_CI_CI_unitstride_sbrr_dirReg
; %bb.0:
	s_load_b128 s[8:11], s[0:1], 0x0
	v_mul_u32_u24_e32 v1, 0xc31, v0
	s_clause 0x1
	s_load_b128 s[4:7], s[0:1], 0x58
	s_load_b128 s[12:15], s[0:1], 0x18
	v_mov_b32_e32 v5, 0
	v_lshrrev_b32_e32 v3, 16, v1
	v_mov_b32_e32 v1, 0
	v_mov_b32_e32 v2, 0
	s_delay_alu instid0(VALU_DEP_3) | instskip(NEXT) | instid1(VALU_DEP_2)
	v_mad_co_u64_u32 v[3:4], null, ttmp9, 3, v[3:4]
	v_dual_mov_b32 v4, v5 :: v_dual_mov_b32 v29, v2
	s_delay_alu instid0(VALU_DEP_1) | instskip(NEXT) | instid1(VALU_DEP_3)
	v_dual_mov_b32 v28, v1 :: v_dual_mov_b32 v31, v4
	v_mov_b32_e32 v30, v3
	s_wait_kmcnt 0x0
	v_cmp_lt_u64_e64 s2, s[10:11], 2
	s_delay_alu instid0(VALU_DEP_1)
	s_and_b32 vcc_lo, exec_lo, s2
	s_cbranch_vccnz .LBB0_8
; %bb.1:
	s_load_b64 s[2:3], s[0:1], 0x10
	v_dual_mov_b32 v1, 0 :: v_dual_mov_b32 v8, v4
	v_dual_mov_b32 v2, 0 :: v_dual_mov_b32 v7, v3
	s_add_nc_u64 s[16:17], s[14:15], 8
	s_add_nc_u64 s[18:19], s[12:13], 8
	s_mov_b64 s[20:21], 1
	s_delay_alu instid0(VALU_DEP_1)
	v_dual_mov_b32 v29, v2 :: v_dual_mov_b32 v28, v1
	s_wait_kmcnt 0x0
	s_add_nc_u64 s[22:23], s[2:3], 8
	s_mov_b32 s3, 0
.LBB0_2:                                ; =>This Inner Loop Header: Depth=1
	s_load_b64 s[24:25], s[22:23], 0x0
                                        ; implicit-def: $vgpr30_vgpr31
	s_mov_b32 s2, exec_lo
	s_wait_kmcnt 0x0
	v_or_b32_e32 v6, s25, v8
	s_delay_alu instid0(VALU_DEP_1)
	v_cmpx_ne_u64_e32 0, v[5:6]
	s_wait_alu 0xfffe
	s_xor_b32 s26, exec_lo, s2
	s_cbranch_execz .LBB0_4
; %bb.3:                                ;   in Loop: Header=BB0_2 Depth=1
	s_cvt_f32_u32 s2, s24
	s_cvt_f32_u32 s27, s25
	s_sub_nc_u64 s[30:31], 0, s[24:25]
	s_wait_alu 0xfffe
	s_delay_alu instid0(SALU_CYCLE_1) | instskip(SKIP_1) | instid1(SALU_CYCLE_2)
	s_fmamk_f32 s2, s27, 0x4f800000, s2
	s_wait_alu 0xfffe
	v_s_rcp_f32 s2, s2
	s_delay_alu instid0(TRANS32_DEP_1) | instskip(SKIP_1) | instid1(SALU_CYCLE_2)
	s_mul_f32 s2, s2, 0x5f7ffffc
	s_wait_alu 0xfffe
	s_mul_f32 s27, s2, 0x2f800000
	s_wait_alu 0xfffe
	s_delay_alu instid0(SALU_CYCLE_2) | instskip(SKIP_1) | instid1(SALU_CYCLE_2)
	s_trunc_f32 s27, s27
	s_wait_alu 0xfffe
	s_fmamk_f32 s2, s27, 0xcf800000, s2
	s_cvt_u32_f32 s29, s27
	s_wait_alu 0xfffe
	s_delay_alu instid0(SALU_CYCLE_1) | instskip(SKIP_1) | instid1(SALU_CYCLE_2)
	s_cvt_u32_f32 s28, s2
	s_wait_alu 0xfffe
	s_mul_u64 s[34:35], s[30:31], s[28:29]
	s_wait_alu 0xfffe
	s_mul_hi_u32 s37, s28, s35
	s_mul_i32 s36, s28, s35
	s_mul_hi_u32 s2, s28, s34
	s_mul_i32 s33, s29, s34
	s_wait_alu 0xfffe
	s_add_nc_u64 s[36:37], s[2:3], s[36:37]
	s_mul_hi_u32 s27, s29, s34
	s_mul_hi_u32 s38, s29, s35
	s_add_co_u32 s2, s36, s33
	s_wait_alu 0xfffe
	s_add_co_ci_u32 s2, s37, s27
	s_mul_i32 s34, s29, s35
	s_add_co_ci_u32 s35, s38, 0
	s_wait_alu 0xfffe
	s_add_nc_u64 s[34:35], s[2:3], s[34:35]
	s_wait_alu 0xfffe
	v_add_co_u32 v4, s2, s28, s34
	s_delay_alu instid0(VALU_DEP_1) | instskip(SKIP_1) | instid1(VALU_DEP_1)
	s_cmp_lg_u32 s2, 0
	s_add_co_ci_u32 s29, s29, s35
	v_readfirstlane_b32 s28, v4
	s_wait_alu 0xfffe
	s_delay_alu instid0(VALU_DEP_1)
	s_mul_u64 s[30:31], s[30:31], s[28:29]
	s_wait_alu 0xfffe
	s_mul_hi_u32 s35, s28, s31
	s_mul_i32 s34, s28, s31
	s_mul_hi_u32 s2, s28, s30
	s_mul_i32 s33, s29, s30
	s_wait_alu 0xfffe
	s_add_nc_u64 s[34:35], s[2:3], s[34:35]
	s_mul_hi_u32 s27, s29, s30
	s_mul_hi_u32 s28, s29, s31
	s_wait_alu 0xfffe
	s_add_co_u32 s2, s34, s33
	s_add_co_ci_u32 s2, s35, s27
	s_mul_i32 s30, s29, s31
	s_add_co_ci_u32 s31, s28, 0
	s_wait_alu 0xfffe
	s_add_nc_u64 s[30:31], s[2:3], s[30:31]
	s_wait_alu 0xfffe
	v_add_co_u32 v4, s2, v4, s30
	s_delay_alu instid0(VALU_DEP_1) | instskip(SKIP_1) | instid1(VALU_DEP_1)
	s_cmp_lg_u32 s2, 0
	s_add_co_ci_u32 s2, s29, s31
	v_mul_hi_u32 v6, v7, v4
	s_wait_alu 0xfffe
	v_mad_co_u64_u32 v[9:10], null, v7, s2, 0
	v_mad_co_u64_u32 v[11:12], null, v8, v4, 0
	;; [unrolled: 1-line block ×3, first 2 shown]
	s_delay_alu instid0(VALU_DEP_3) | instskip(SKIP_1) | instid1(VALU_DEP_4)
	v_add_co_u32 v4, vcc_lo, v6, v9
	s_wait_alu 0xfffd
	v_add_co_ci_u32_e32 v6, vcc_lo, 0, v10, vcc_lo
	s_delay_alu instid0(VALU_DEP_2) | instskip(SKIP_1) | instid1(VALU_DEP_2)
	v_add_co_u32 v4, vcc_lo, v4, v11
	s_wait_alu 0xfffd
	v_add_co_ci_u32_e32 v4, vcc_lo, v6, v12, vcc_lo
	s_wait_alu 0xfffd
	v_add_co_ci_u32_e32 v6, vcc_lo, 0, v14, vcc_lo
	s_delay_alu instid0(VALU_DEP_2) | instskip(SKIP_1) | instid1(VALU_DEP_2)
	v_add_co_u32 v4, vcc_lo, v4, v13
	s_wait_alu 0xfffd
	v_add_co_ci_u32_e32 v6, vcc_lo, 0, v6, vcc_lo
	s_delay_alu instid0(VALU_DEP_2) | instskip(SKIP_1) | instid1(VALU_DEP_3)
	v_mul_lo_u32 v11, s25, v4
	v_mad_co_u64_u32 v[9:10], null, s24, v4, 0
	v_mul_lo_u32 v12, s24, v6
	s_delay_alu instid0(VALU_DEP_2) | instskip(NEXT) | instid1(VALU_DEP_2)
	v_sub_co_u32 v9, vcc_lo, v7, v9
	v_add3_u32 v10, v10, v12, v11
	s_delay_alu instid0(VALU_DEP_1) | instskip(SKIP_1) | instid1(VALU_DEP_1)
	v_sub_nc_u32_e32 v11, v8, v10
	s_wait_alu 0xfffd
	v_subrev_co_ci_u32_e64 v11, s2, s25, v11, vcc_lo
	v_add_co_u32 v12, s2, v4, 2
	s_wait_alu 0xf1ff
	v_add_co_ci_u32_e64 v13, s2, 0, v6, s2
	v_sub_co_u32 v14, s2, v9, s24
	v_sub_co_ci_u32_e32 v10, vcc_lo, v8, v10, vcc_lo
	s_wait_alu 0xf1ff
	v_subrev_co_ci_u32_e64 v11, s2, 0, v11, s2
	s_delay_alu instid0(VALU_DEP_3) | instskip(NEXT) | instid1(VALU_DEP_3)
	v_cmp_le_u32_e32 vcc_lo, s24, v14
	v_cmp_eq_u32_e64 s2, s25, v10
	s_wait_alu 0xfffd
	v_cndmask_b32_e64 v14, 0, -1, vcc_lo
	v_cmp_le_u32_e32 vcc_lo, s25, v11
	s_wait_alu 0xfffd
	v_cndmask_b32_e64 v15, 0, -1, vcc_lo
	v_cmp_le_u32_e32 vcc_lo, s24, v9
	;; [unrolled: 3-line block ×3, first 2 shown]
	s_wait_alu 0xfffd
	v_cndmask_b32_e64 v16, 0, -1, vcc_lo
	v_cmp_eq_u32_e32 vcc_lo, s25, v11
	s_wait_alu 0xf1ff
	s_delay_alu instid0(VALU_DEP_2)
	v_cndmask_b32_e64 v9, v16, v9, s2
	s_wait_alu 0xfffd
	v_cndmask_b32_e32 v11, v15, v14, vcc_lo
	v_add_co_u32 v14, vcc_lo, v4, 1
	s_wait_alu 0xfffd
	v_add_co_ci_u32_e32 v15, vcc_lo, 0, v6, vcc_lo
	s_delay_alu instid0(VALU_DEP_3) | instskip(SKIP_1) | instid1(VALU_DEP_2)
	v_cmp_ne_u32_e32 vcc_lo, 0, v11
	s_wait_alu 0xfffd
	v_dual_cndmask_b32 v10, v15, v13 :: v_dual_cndmask_b32 v11, v14, v12
	v_cmp_ne_u32_e32 vcc_lo, 0, v9
	s_wait_alu 0xfffd
	s_delay_alu instid0(VALU_DEP_2)
	v_dual_cndmask_b32 v31, v6, v10 :: v_dual_cndmask_b32 v30, v4, v11
.LBB0_4:                                ;   in Loop: Header=BB0_2 Depth=1
	s_wait_alu 0xfffe
	s_and_not1_saveexec_b32 s2, s26
	s_cbranch_execz .LBB0_6
; %bb.5:                                ;   in Loop: Header=BB0_2 Depth=1
	v_cvt_f32_u32_e32 v4, s24
	s_sub_co_i32 s26, 0, s24
	v_mov_b32_e32 v31, v5
	s_delay_alu instid0(VALU_DEP_2) | instskip(NEXT) | instid1(TRANS32_DEP_1)
	v_rcp_iflag_f32_e32 v4, v4
	v_mul_f32_e32 v4, 0x4f7ffffe, v4
	s_delay_alu instid0(VALU_DEP_1) | instskip(SKIP_1) | instid1(VALU_DEP_1)
	v_cvt_u32_f32_e32 v4, v4
	s_wait_alu 0xfffe
	v_mul_lo_u32 v6, s26, v4
	s_delay_alu instid0(VALU_DEP_1) | instskip(NEXT) | instid1(VALU_DEP_1)
	v_mul_hi_u32 v6, v4, v6
	v_add_nc_u32_e32 v4, v4, v6
	s_delay_alu instid0(VALU_DEP_1) | instskip(NEXT) | instid1(VALU_DEP_1)
	v_mul_hi_u32 v4, v7, v4
	v_mul_lo_u32 v6, v4, s24
	s_delay_alu instid0(VALU_DEP_1) | instskip(NEXT) | instid1(VALU_DEP_1)
	v_sub_nc_u32_e32 v6, v7, v6
	v_subrev_nc_u32_e32 v10, s24, v6
	v_cmp_le_u32_e32 vcc_lo, s24, v6
	s_wait_alu 0xfffd
	s_delay_alu instid0(VALU_DEP_2) | instskip(NEXT) | instid1(VALU_DEP_1)
	v_dual_cndmask_b32 v6, v6, v10 :: v_dual_add_nc_u32 v9, 1, v4
	v_cndmask_b32_e32 v4, v4, v9, vcc_lo
	s_delay_alu instid0(VALU_DEP_2) | instskip(NEXT) | instid1(VALU_DEP_2)
	v_cmp_le_u32_e32 vcc_lo, s24, v6
	v_add_nc_u32_e32 v9, 1, v4
	s_wait_alu 0xfffd
	s_delay_alu instid0(VALU_DEP_1)
	v_cndmask_b32_e32 v30, v4, v9, vcc_lo
.LBB0_6:                                ;   in Loop: Header=BB0_2 Depth=1
	s_wait_alu 0xfffe
	s_or_b32 exec_lo, exec_lo, s2
	v_mul_lo_u32 v4, v31, s24
	s_delay_alu instid0(VALU_DEP_2)
	v_mul_lo_u32 v6, v30, s25
	s_load_b64 s[26:27], s[18:19], 0x0
	v_mad_co_u64_u32 v[9:10], null, v30, s24, 0
	s_load_b64 s[24:25], s[16:17], 0x0
	s_add_nc_u64 s[20:21], s[20:21], 1
	s_add_nc_u64 s[16:17], s[16:17], 8
	s_wait_alu 0xfffe
	v_cmp_ge_u64_e64 s2, s[20:21], s[10:11]
	s_add_nc_u64 s[18:19], s[18:19], 8
	s_add_nc_u64 s[22:23], s[22:23], 8
	v_add3_u32 v4, v10, v6, v4
	v_sub_co_u32 v6, vcc_lo, v7, v9
	s_wait_alu 0xfffd
	s_delay_alu instid0(VALU_DEP_2) | instskip(SKIP_2) | instid1(VALU_DEP_1)
	v_sub_co_ci_u32_e32 v4, vcc_lo, v8, v4, vcc_lo
	s_and_b32 vcc_lo, exec_lo, s2
	s_wait_kmcnt 0x0
	v_mul_lo_u32 v7, s26, v4
	v_mul_lo_u32 v8, s27, v6
	v_mad_co_u64_u32 v[1:2], null, s26, v6, v[1:2]
	v_mul_lo_u32 v4, s24, v4
	v_mul_lo_u32 v9, s25, v6
	v_mad_co_u64_u32 v[28:29], null, s24, v6, v[28:29]
	s_delay_alu instid0(VALU_DEP_4) | instskip(NEXT) | instid1(VALU_DEP_2)
	v_add3_u32 v2, v8, v2, v7
	v_add3_u32 v29, v9, v29, v4
	s_wait_alu 0xfffe
	s_cbranch_vccnz .LBB0_8
; %bb.7:                                ;   in Loop: Header=BB0_2 Depth=1
	v_dual_mov_b32 v7, v30 :: v_dual_mov_b32 v8, v31
	s_branch .LBB0_2
.LBB0_8:
	s_load_b64 s[0:1], s[0:1], 0x28
	v_mul_hi_u32 v4, 0xaaaaaaab, v3
	s_lshl_b64 s[10:11], s[10:11], 3
                                        ; implicit-def: $vgpr32
                                        ; implicit-def: $vgpr37
	s_delay_alu instid0(VALU_DEP_1) | instskip(NEXT) | instid1(VALU_DEP_1)
	v_lshrrev_b32_e32 v4, 1, v4
	v_lshl_add_u32 v5, v4, 1, v4
	v_mul_hi_u32 v4, 0xc30c30d, v0
	s_delay_alu instid0(VALU_DEP_2) | instskip(SKIP_3) | instid1(VALU_DEP_1)
	v_sub_nc_u32_e32 v3, v3, v5
	s_wait_kmcnt 0x0
	v_cmp_gt_u64_e32 vcc_lo, s[0:1], v[30:31]
	v_cmp_le_u64_e64 s0, s[0:1], v[30:31]
	s_and_saveexec_b32 s1, s0
	s_wait_alu 0xfffe
	s_xor_b32 s0, exec_lo, s1
; %bb.9:
	v_mul_u32_u24_e32 v1, 21, v4
                                        ; implicit-def: $vgpr4
	s_delay_alu instid0(VALU_DEP_1) | instskip(NEXT) | instid1(VALU_DEP_1)
	v_sub_nc_u32_e32 v32, v0, v1
                                        ; implicit-def: $vgpr0
                                        ; implicit-def: $vgpr1_vgpr2
	v_add_nc_u32_e32 v37, 21, v32
; %bb.10:
	s_wait_alu 0xfffe
	s_or_saveexec_b32 s1, s0
	v_mul_u32_u24_e32 v3, 0xbd, v3
	s_add_nc_u64 s[2:3], s[14:15], s[10:11]
	s_delay_alu instid0(VALU_DEP_1)
	v_lshlrev_b32_e32 v35, 4, v3
	s_wait_alu 0xfffe
	s_xor_b32 exec_lo, exec_lo, s1
	s_cbranch_execz .LBB0_12
; %bb.11:
	s_add_nc_u64 s[10:11], s[12:13], s[10:11]
	v_lshlrev_b64_e32 v[1:2], 4, v[1:2]
	s_load_b64 s[10:11], s[10:11], 0x0
	s_wait_kmcnt 0x0
	v_mul_lo_u32 v3, s11, v30
	v_mul_lo_u32 v7, s10, v31
	v_mad_co_u64_u32 v[5:6], null, s10, v30, 0
	s_delay_alu instid0(VALU_DEP_1) | instskip(SKIP_1) | instid1(VALU_DEP_2)
	v_add3_u32 v6, v6, v7, v3
	v_mul_u32_u24_e32 v7, 21, v4
	v_lshlrev_b64_e32 v[3:4], 4, v[5:6]
	s_delay_alu instid0(VALU_DEP_2) | instskip(NEXT) | instid1(VALU_DEP_1)
	v_sub_nc_u32_e32 v32, v0, v7
	v_lshlrev_b32_e32 v36, 4, v32
	s_delay_alu instid0(VALU_DEP_3) | instskip(SKIP_1) | instid1(VALU_DEP_4)
	v_add_co_u32 v0, s0, s4, v3
	s_wait_alu 0xf1ff
	v_add_co_ci_u32_e64 v3, s0, s5, v4, s0
	v_add_nc_u32_e32 v37, 21, v32
	s_delay_alu instid0(VALU_DEP_3) | instskip(SKIP_1) | instid1(VALU_DEP_3)
	v_add_co_u32 v0, s0, v0, v1
	s_wait_alu 0xf1ff
	v_add_co_ci_u32_e64 v1, s0, v3, v2, s0
	s_delay_alu instid0(VALU_DEP_2) | instskip(SKIP_1) | instid1(VALU_DEP_2)
	v_add_co_u32 v33, s0, v0, v36
	s_wait_alu 0xf1ff
	v_add_co_ci_u32_e64 v34, s0, 0, v1, s0
	s_clause 0x8
	global_load_b128 v[0:3], v[33:34], off
	global_load_b128 v[4:7], v[33:34], off offset:336
	global_load_b128 v[8:11], v[33:34], off offset:672
	;; [unrolled: 1-line block ×8, first 2 shown]
	v_add3_u32 v33, 0, v35, v36
	s_wait_loadcnt 0x8
	ds_store_b128 v33, v[0:3]
	s_wait_loadcnt 0x7
	ds_store_b128 v33, v[4:7] offset:336
	s_wait_loadcnt 0x6
	ds_store_b128 v33, v[8:11] offset:672
	;; [unrolled: 2-line block ×8, first 2 shown]
.LBB0_12:
	s_or_b32 exec_lo, exec_lo, s1
	v_lshlrev_b32_e32 v36, 4, v32
	s_load_b64 s[2:3], s[2:3], 0x0
	global_wb scope:SCOPE_SE
	s_wait_dscnt 0x0
	s_wait_kmcnt 0x0
	s_barrier_signal -1
	s_barrier_wait -1
	v_add_nc_u32_e32 v0, 0, v36
	global_inv scope:SCOPE_SE
	v_add_nc_u32_e32 v34, 0, v35
	s_mov_b32 s12, 0x37e14327
	s_mov_b32 s16, 0xe976ee23
	v_add_nc_u32_e32 v33, v0, v35
	s_mov_b32 s13, 0x3fe948f6
	v_add_nc_u32_e32 v36, v34, v36
	s_mov_b32 s17, 0xbfe11646
	s_mov_b32 s4, 0x429ad128
	ds_load_b128 v[24:27], v33 offset:2592
	ds_load_b128 v[38:41], v33 offset:432
	ds_load_b128 v[42:45], v33 offset:864
	ds_load_b128 v[46:49], v33 offset:2160
	ds_load_b128 v[0:3], v33 offset:768
	ds_load_b128 v[4:7], v33 offset:1200
	ds_load_b128 v[8:11], v33 offset:2496
	ds_load_b128 v[12:15], v33 offset:2928
	ds_load_b128 v[50:53], v33 offset:1728
	ds_load_b128 v[54:57], v33 offset:1296
	ds_load_b128 v[16:19], v33 offset:1632
	ds_load_b128 v[20:23], v33 offset:2064
	s_mov_b32 s10, 0x36b3c0b5
	s_mov_b32 s5, 0x3febfeb5
	;; [unrolled: 1-line block ×12, first 2 shown]
	s_wait_dscnt 0xa
	v_add_f64_e32 v[58:59], v[38:39], v[24:25]
	v_add_f64_e32 v[60:61], v[40:41], v[26:27]
	s_wait_dscnt 0x8
	v_add_f64_e32 v[62:63], v[42:43], v[46:47]
	v_add_f64_e32 v[64:65], v[44:45], v[48:49]
	v_add_f64_e64 v[42:43], v[42:43], -v[46:47]
	v_add_f64_e64 v[44:45], v[44:45], -v[48:49]
	s_wait_dscnt 0x2
	v_add_f64_e32 v[46:47], v[54:55], v[50:51]
	v_add_f64_e32 v[48:49], v[56:57], v[52:53]
	v_add_f64_e64 v[50:51], v[50:51], -v[54:55]
	v_add_f64_e64 v[52:53], v[52:53], -v[56:57]
	v_add_f64_e64 v[54:55], v[38:39], -v[24:25]
	v_add_f64_e64 v[56:57], v[40:41], -v[26:27]
	ds_load_b128 v[38:41], v36
	s_mov_b32 s24, s22
	s_mov_b32 s26, 0x37c3f68c
	;; [unrolled: 1-line block ×3, first 2 shown]
	s_mov_b32 s1, exec_lo
	v_add_f64_e32 v[24:25], v[62:63], v[58:59]
	v_add_f64_e32 v[26:27], v[64:65], v[60:61]
	v_add_f64_e64 v[66:67], v[58:59], -v[46:47]
	v_add_f64_e64 v[68:69], v[60:61], -v[48:49]
	v_add_f64_e64 v[70:71], v[50:51], -v[42:43]
	v_add_f64_e64 v[72:73], v[52:53], -v[44:45]
	v_add_f64_e64 v[74:75], v[42:43], -v[54:55]
	v_add_f64_e64 v[76:77], v[44:45], -v[56:57]
	v_add_f64_e32 v[42:43], v[50:51], v[42:43]
	v_add_f64_e32 v[44:45], v[52:53], v[44:45]
	v_add_f64_e64 v[50:51], v[54:55], -v[50:51]
	v_add_f64_e64 v[52:53], v[56:57], -v[52:53]
	;; [unrolled: 1-line block ×4, first 2 shown]
	v_add_f64_e32 v[78:79], v[46:47], v[24:25]
	v_add_f64_e32 v[80:81], v[48:49], v[26:27]
	ds_load_b128 v[24:27], v33 offset:336
	v_add_f64_e64 v[46:47], v[46:47], -v[62:63]
	v_add_f64_e64 v[48:49], v[48:49], -v[64:65]
	v_mul_f64_e32 v[66:67], s[12:13], v[66:67]
	v_mul_f64_e32 v[68:69], s[12:13], v[68:69]
	;; [unrolled: 1-line block ×4, first 2 shown]
	s_wait_alu 0xfffe
	v_mul_f64_e32 v[82:83], s[4:5], v[74:75]
	v_mul_f64_e32 v[84:85], s[4:5], v[76:77]
	v_add_f64_e32 v[42:43], v[42:43], v[54:55]
	v_add_f64_e32 v[44:45], v[44:45], v[56:57]
	global_wb scope:SCOPE_SE
	s_wait_dscnt 0x0
	s_barrier_signal -1
	s_barrier_wait -1
	global_inv scope:SCOPE_SE
	v_add_f64_e32 v[38:39], v[38:39], v[78:79]
	v_add_f64_e32 v[40:41], v[40:41], v[80:81]
	v_mul_f64_e32 v[62:63], s[10:11], v[46:47]
	v_mul_f64_e32 v[64:65], s[10:11], v[48:49]
	v_fma_f64 v[46:47], v[46:47], s[10:11], v[66:67]
	v_fma_f64 v[48:49], v[48:49], s[10:11], v[68:69]
	;; [unrolled: 1-line block ×4, first 2 shown]
	v_fma_f64 v[70:71], v[74:75], s[4:5], -v[70:71]
	v_fma_f64 v[72:73], v[76:77], s[4:5], -v[72:73]
	;; [unrolled: 1-line block ×6, first 2 shown]
	v_fma_f64 v[74:75], v[78:79], s[14:15], v[38:39]
	v_fma_f64 v[76:77], v[80:81], s[14:15], v[40:41]
	v_fma_f64 v[58:59], v[58:59], s[18:19], -v[62:63]
	v_fma_f64 v[60:61], v[60:61], s[18:19], -v[64:65]
	v_fma_f64 v[64:65], v[42:43], s[26:27], v[54:55]
	v_fma_f64 v[62:63], v[44:45], s[26:27], v[56:57]
	;; [unrolled: 1-line block ×6, first 2 shown]
	v_add_f64_e32 v[78:79], v[46:47], v[74:75]
	v_add_f64_e32 v[80:81], v[48:49], v[76:77]
	;; [unrolled: 1-line block ×7, first 2 shown]
	v_add_f64_e64 v[44:45], v[80:81], -v[64:65]
	v_add_f64_e32 v[46:47], v[66:67], v[72:73]
	v_add_f64_e64 v[48:49], v[68:69], -v[70:71]
	v_add_f64_e64 v[50:51], v[58:59], -v[54:55]
	v_add_f64_e32 v[52:53], v[56:57], v[60:61]
	v_add_f64_e32 v[54:55], v[58:59], v[54:55]
	v_add_f64_e64 v[56:57], v[60:61], -v[56:57]
	v_add_f64_e64 v[58:59], v[66:67], -v[72:73]
	v_add_f64_e32 v[60:61], v[70:71], v[68:69]
	v_add_f64_e64 v[62:63], v[78:79], -v[62:63]
	v_add_f64_e32 v[64:65], v[64:65], v[80:81]
	v_mad_u32_u24 v66, 0x70, v32, v34
	ds_store_b128 v66, v[38:41]
	ds_store_b128 v66, v[42:45] offset:16
	ds_store_b128 v66, v[46:49] offset:32
	;; [unrolled: 1-line block ×6, first 2 shown]
	v_cmpx_gt_u32_e32 6, v32
	s_cbranch_execz .LBB0_14
; %bb.13:
	v_add_f64_e32 v[38:39], v[2:3], v[14:15]
	v_add_f64_e32 v[40:41], v[6:7], v[10:11]
	;; [unrolled: 1-line block ×4, first 2 shown]
	v_add_f64_e64 v[46:47], v[20:21], -v[16:17]
	v_add_f64_e64 v[4:5], v[4:5], -v[8:9]
	v_add_f64_e32 v[8:9], v[18:19], v[22:23]
	v_add_f64_e32 v[16:17], v[16:17], v[20:21]
	v_add_f64_e64 v[12:13], v[0:1], -v[12:13]
	v_add_f64_e64 v[18:19], v[22:23], -v[18:19]
	;; [unrolled: 1-line block ×4, first 2 shown]
	v_add_f64_e32 v[0:1], v[40:41], v[38:39]
	v_add_f64_e32 v[2:3], v[44:45], v[42:43]
	v_add_f64_e64 v[14:15], v[46:47], -v[4:5]
	v_add_f64_e64 v[20:21], v[38:39], -v[8:9]
	;; [unrolled: 1-line block ×5, first 2 shown]
	v_add_f64_e32 v[4:5], v[46:47], v[4:5]
	v_add_f64_e64 v[52:53], v[6:7], -v[10:11]
	v_add_f64_e32 v[50:51], v[8:9], v[0:1]
	v_add_f64_e64 v[8:9], v[8:9], -v[40:41]
	v_add_f64_e64 v[0:1], v[18:19], -v[6:7]
	v_add_f64_e32 v[54:55], v[16:17], v[2:3]
	v_add_f64_e64 v[16:17], v[16:17], -v[44:45]
	v_add_f64_e32 v[6:7], v[18:19], v[6:7]
	v_mul_f64_e32 v[14:15], s[16:17], v[14:15]
	v_mul_f64_e32 v[20:21], s[12:13], v[20:21]
	;; [unrolled: 1-line block ×4, first 2 shown]
	v_add_f64_e64 v[18:19], v[10:11], -v[18:19]
	v_mul_f64_e32 v[58:59], s[4:5], v[52:53]
	v_add_f64_e32 v[4:5], v[4:5], v[12:13]
	v_add_f64_e32 v[2:3], v[26:27], v[50:51]
	v_add_f64_e64 v[26:27], v[40:41], -v[38:39]
	v_mul_f64_e32 v[38:39], s[10:11], v[8:9]
	v_mul_f64_e32 v[40:41], s[16:17], v[0:1]
	v_add_f64_e32 v[0:1], v[24:25], v[54:55]
	v_add_f64_e64 v[24:25], v[44:45], -v[42:43]
	v_mul_f64_e32 v[42:43], s[10:11], v[16:17]
	v_add_f64_e32 v[6:7], v[6:7], v[10:11]
	v_fma_f64 v[10:11], v[56:57], s[22:23], v[14:15]
	v_fma_f64 v[8:9], v[8:9], s[10:11], v[20:21]
	;; [unrolled: 1-line block ×3, first 2 shown]
	v_fma_f64 v[16:17], v[56:57], s[24:25], -v[46:47]
	v_fma_f64 v[14:15], v[48:49], s[4:5], -v[14:15]
	v_fma_f64 v[44:45], v[50:51], s[14:15], v[2:3]
	v_fma_f64 v[20:21], v[26:27], s[20:21], -v[20:21]
	v_fma_f64 v[26:27], v[26:27], s[18:19], -v[38:39]
	v_fma_f64 v[38:39], v[18:19], s[22:23], v[40:41]
	v_fma_f64 v[46:47], v[54:55], s[14:15], v[0:1]
	v_fma_f64 v[18:19], v[18:19], s[24:25], -v[58:59]
	v_fma_f64 v[22:23], v[24:25], s[20:21], -v[22:23]
	;; [unrolled: 1-line block ×4, first 2 shown]
	v_fma_f64 v[42:43], v[4:5], s[26:27], v[10:11]
	v_fma_f64 v[16:17], v[4:5], s[26:27], v[16:17]
	;; [unrolled: 1-line block ×3, first 2 shown]
	v_add_f64_e32 v[8:9], v[8:9], v[44:45]
	v_add_f64_e32 v[20:21], v[20:21], v[44:45]
	;; [unrolled: 1-line block ×3, first 2 shown]
	v_fma_f64 v[38:39], v[6:7], s[26:27], v[38:39]
	v_add_f64_e32 v[48:49], v[12:13], v[46:47]
	v_fma_f64 v[44:45], v[6:7], s[26:27], v[18:19]
	v_add_f64_e32 v[50:51], v[22:23], v[46:47]
	;; [unrolled: 2-line block ×3, first 2 shown]
	v_add_f64_e32 v[6:7], v[42:43], v[8:9]
	v_add_f64_e32 v[10:11], v[16:17], v[20:21]
	v_add_f64_e64 v[14:15], v[26:27], -v[4:5]
	v_add_f64_e32 v[18:19], v[4:5], v[26:27]
	v_add_f64_e64 v[26:27], v[8:9], -v[42:43]
	;; [unrolled: 2-line block ×5, first 2 shown]
	v_add_f64_e64 v[4:5], v[48:49], -v[38:39]
	v_mul_i32_i24_e32 v38, 0x70, v37
	s_delay_alu instid0(VALU_DEP_1)
	v_add3_u32 v38, 0, v38, v35
	ds_store_b128 v38, v[0:3]
	ds_store_b128 v38, v[24:27] offset:16
	ds_store_b128 v38, v[20:23] offset:32
	;; [unrolled: 1-line block ×6, first 2 shown]
.LBB0_14:
	s_or_b32 exec_lo, exec_lo, s1
	v_and_b32_e32 v0, 0xff, v32
	v_add_nc_u32_e32 v2, 42, v32
	v_and_b32_e32 v1, 0xff, v37
	global_wb scope:SCOPE_SE
	s_wait_dscnt 0x0
	s_barrier_signal -1
	v_mul_lo_u16 v0, v0, 37
	v_and_b32_e32 v72, 0xff, v2
	v_mul_lo_u16 v1, v1, 37
	s_barrier_wait -1
	global_inv scope:SCOPE_SE
	v_lshrrev_b16 v0, 8, v0
	v_mul_lo_u16 v3, v72, 37
	v_lshrrev_b16 v1, 8, v1
	v_mul_lo_u16 v80, 0x87, v72
	s_mov_b32 s4, 0xe8584caa
	v_sub_nc_u16 v4, v32, v0
	v_lshrrev_b16 v3, 8, v3
	v_sub_nc_u16 v5, v37, v1
	s_mov_b32 s5, 0x3febb67a
	s_mov_b32 s11, 0xbfebb67a
	v_lshrrev_b16 v4, 1, v4
	v_sub_nc_u16 v6, v2, v3
	v_lshrrev_b16 v5, 1, v5
	s_wait_alu 0xfffe
	s_mov_b32 s10, s4
	v_and_b32_e32 v4, 0x7f, v4
	v_lshrrev_b16 v6, 1, v6
	v_and_b32_e32 v5, 0x7f, v5
	s_delay_alu instid0(VALU_DEP_3) | instskip(NEXT) | instid1(VALU_DEP_3)
	v_add_nc_u16 v0, v4, v0
	v_and_b32_e32 v4, 0x7f, v6
	s_delay_alu instid0(VALU_DEP_3) | instskip(NEXT) | instid1(VALU_DEP_3)
	v_add_nc_u16 v1, v5, v1
	v_lshrrev_b16 v74, 2, v0
	s_delay_alu instid0(VALU_DEP_3) | instskip(NEXT) | instid1(VALU_DEP_3)
	v_add_nc_u16 v0, v4, v3
	v_lshrrev_b16 v75, 2, v1
	s_delay_alu instid0(VALU_DEP_3) | instskip(NEXT) | instid1(VALU_DEP_3)
	v_mul_lo_u16 v1, v74, 7
	v_lshrrev_b16 v76, 2, v0
	s_delay_alu instid0(VALU_DEP_3) | instskip(NEXT) | instid1(VALU_DEP_3)
	v_mul_lo_u16 v0, v75, 7
	v_sub_nc_u16 v1, v32, v1
	s_delay_alu instid0(VALU_DEP_3) | instskip(NEXT) | instid1(VALU_DEP_3)
	v_mul_lo_u16 v3, v76, 7
	v_sub_nc_u16 v0, v37, v0
	s_delay_alu instid0(VALU_DEP_3) | instskip(NEXT) | instid1(VALU_DEP_3)
	v_and_b32_e32 v77, 0xff, v1
	v_sub_nc_u16 v1, v2, v3
	s_delay_alu instid0(VALU_DEP_3) | instskip(NEXT) | instid1(VALU_DEP_3)
	v_and_b32_e32 v78, 0xff, v0
	v_lshlrev_b32_e32 v0, 5, v77
	s_delay_alu instid0(VALU_DEP_3) | instskip(NEXT) | instid1(VALU_DEP_3)
	v_and_b32_e32 v79, 0xff, v1
	v_lshlrev_b32_e32 v1, 5, v78
	s_clause 0x1
	global_load_b128 v[3:6], v0, s[8:9]
	global_load_b128 v[7:10], v0, s[8:9] offset:16
	v_lshlrev_b32_e32 v0, 5, v79
	s_clause 0x3
	global_load_b128 v[11:14], v1, s[8:9]
	global_load_b128 v[15:18], v1, s[8:9] offset:16
	global_load_b128 v[19:22], v0, s[8:9]
	global_load_b128 v[23:26], v0, s[8:9] offset:16
	ds_load_b128 v[38:41], v33 offset:1008
	ds_load_b128 v[42:45], v33 offset:2016
	;; [unrolled: 1-line block ×6, first 2 shown]
	s_wait_loadcnt_dscnt 0x505
	v_mul_f64_e32 v[0:1], v[40:41], v[5:6]
	s_wait_loadcnt_dscnt 0x404
	v_mul_f64_e32 v[62:63], v[44:45], v[9:10]
	v_mul_f64_e32 v[5:6], v[38:39], v[5:6]
	v_mul_f64_e32 v[9:10], v[42:43], v[9:10]
	s_wait_loadcnt_dscnt 0x303
	v_mul_f64_e32 v[64:65], v[48:49], v[13:14]
	s_wait_loadcnt_dscnt 0x202
	v_mul_f64_e32 v[66:67], v[52:53], v[17:18]
	v_mul_f64_e32 v[13:14], v[46:47], v[13:14]
	v_mul_f64_e32 v[17:18], v[50:51], v[17:18]
	;; [unrolled: 6-line block ×3, first 2 shown]
	v_fma_f64 v[0:1], v[38:39], v[3:4], -v[0:1]
	v_fma_f64 v[38:39], v[42:43], v[7:8], -v[62:63]
	v_fma_f64 v[40:41], v[40:41], v[3:4], v[5:6]
	v_fma_f64 v[42:43], v[44:45], v[7:8], v[9:10]
	v_fma_f64 v[44:45], v[46:47], v[11:12], -v[64:65]
	v_fma_f64 v[46:47], v[50:51], v[15:16], -v[66:67]
	v_fma_f64 v[48:49], v[48:49], v[11:12], v[13:14]
	v_fma_f64 v[16:17], v[52:53], v[15:16], v[17:18]
	;; [unrolled: 4-line block ×3, first 2 shown]
	v_lshlrev_b32_e32 v3, 4, v37
	s_delay_alu instid0(VALU_DEP_1)
	v_add3_u32 v3, 0, v3, v35
	ds_load_b128 v[4:7], v36
	ds_load_b128 v[8:11], v3
	ds_load_b128 v[12:15], v33 offset:672
	global_wb scope:SCOPE_SE
	s_wait_dscnt 0x0
	s_barrier_signal -1
	s_barrier_wait -1
	global_inv scope:SCOPE_SE
	v_add_f64_e32 v[60:61], v[4:5], v[0:1]
	v_add_f64_e32 v[22:23], v[0:1], v[38:39]
	;; [unrolled: 1-line block ×3, first 2 shown]
	v_add_f64_e64 v[62:63], v[40:41], -v[42:43]
	v_add_f64_e32 v[26:27], v[44:45], v[46:47]
	v_add_f64_e32 v[40:41], v[6:7], v[40:41]
	;; [unrolled: 1-line block ×5, first 2 shown]
	v_add_f64_e64 v[0:1], v[0:1], -v[38:39]
	v_add_f64_e32 v[58:59], v[18:19], v[20:21]
	v_add_f64_e32 v[70:71], v[14:15], v[18:19]
	v_add_f64_e32 v[64:65], v[8:9], v[44:45]
	v_add_f64_e64 v[48:49], v[48:49], -v[16:17]
	v_add_f64_e64 v[44:45], v[44:45], -v[46:47]
	v_add_f64_e32 v[68:69], v[12:13], v[50:51]
	v_add_f64_e64 v[72:73], v[18:19], -v[20:21]
	v_add_f64_e64 v[50:51], v[50:51], -v[52:53]
	v_fma_f64 v[22:23], v[22:23], -0.5, v[4:5]
	v_fma_f64 v[24:25], v[24:25], -0.5, v[6:7]
	v_lshrrev_b16 v4, 8, v80
	v_fma_f64 v[26:27], v[26:27], -0.5, v[8:9]
	v_add_f64_e32 v[6:7], v[40:41], v[42:43]
	v_fma_f64 v[54:55], v[54:55], -0.5, v[10:11]
	v_add_f64_e32 v[10:11], v[66:67], v[16:17]
	v_fma_f64 v[56:57], v[56:57], -0.5, v[12:13]
	v_sub_nc_u16 v5, v2, v4
	v_fma_f64 v[58:59], v[58:59], -0.5, v[14:15]
	v_add_f64_e32 v[14:15], v[70:71], v[20:21]
	v_add_f64_e32 v[8:9], v[64:65], v[46:47]
	s_delay_alu instid0(VALU_DEP_4) | instskip(SKIP_3) | instid1(VALU_DEP_4)
	v_lshrrev_b16 v5, 1, v5
	v_add_f64_e32 v[12:13], v[68:69], v[52:53]
	v_and_b32_e32 v52, 0xffff, v74
	v_and_b32_e32 v53, 0xffff, v75
	;; [unrolled: 1-line block ×3, first 2 shown]
	s_delay_alu instid0(VALU_DEP_1)
	v_add_nc_u16 v80, v5, v4
	v_add_f64_e32 v[4:5], v[60:61], v[38:39]
	v_fma_f64 v[16:17], v[62:63], s[4:5], v[22:23]
	s_wait_alu 0xfffe
	v_fma_f64 v[18:19], v[0:1], s[10:11], v[24:25]
	v_fma_f64 v[20:21], v[62:63], s[10:11], v[22:23]
	;; [unrolled: 1-line block ×3, first 2 shown]
	v_mov_b32_e32 v1, 0
	v_fma_f64 v[24:25], v[48:49], s[4:5], v[26:27]
	v_fma_f64 v[38:39], v[48:49], s[10:11], v[26:27]
	;; [unrolled: 1-line block ×8, first 2 shown]
	v_lshrrev_b16 v50, 4, v80
	v_lshlrev_b32_e32 v0, 1, v32
	v_lshlrev_b32_e32 v57, 4, v77
	;; [unrolled: 1-line block ×3, first 2 shown]
	s_delay_alu instid0(VALU_DEP_4) | instskip(NEXT) | instid1(VALU_DEP_4)
	v_and_b32_e32 v54, 15, v50
	v_lshlrev_b64_e32 v[50:51], 4, v[0:1]
	v_mad_u32_u24 v0, 0x150, v52, 0
	v_mad_u32_u24 v52, 0x150, v53, 0
	v_and_b32_e32 v53, 0xffff, v76
	v_mul_lo_u16 v56, v54, 21
	v_add_co_u32 v54, s0, s8, v50
	s_wait_alu 0xf1ff
	v_add_co_ci_u32_e64 v55, s0, s9, v51, s0
	s_delay_alu instid0(VALU_DEP_3)
	v_sub_nc_u16 v50, v2, v56
	v_mad_u32_u24 v51, 0x150, v53, 0
	v_add3_u32 v0, v0, v57, v35
	v_lshlrev_b32_e32 v53, 4, v79
	v_add3_u32 v52, v52, v58, v35
	v_and_b32_e32 v82, 0xff, v50
	s_delay_alu instid0(VALU_DEP_3)
	v_add3_u32 v50, v51, v53, v35
	ds_store_b128 v0, v[4:7]
	ds_store_b128 v0, v[16:19] offset:112
	ds_store_b128 v0, v[20:23] offset:224
	ds_store_b128 v52, v[8:11]
	ds_store_b128 v52, v[24:27] offset:112
	ds_store_b128 v52, v[38:41] offset:224
	;; [unrolled: 3-line block ×3, first 2 shown]
	global_wb scope:SCOPE_SE
	s_wait_dscnt 0x0
	s_barrier_signal -1
	s_barrier_wait -1
	global_inv scope:SCOPE_SE
	s_clause 0x1
	global_load_b128 v[4:7], v[54:55], off offset:224
	global_load_b128 v[8:11], v[54:55], off offset:240
	v_lshlrev_b32_e32 v0, 5, v82
	s_clause 0x1
	global_load_b128 v[12:15], v0, s[8:9] offset:224
	global_load_b128 v[16:19], v0, s[8:9] offset:240
	ds_load_b128 v[20:23], v33 offset:1008
	ds_load_b128 v[24:27], v33 offset:2016
	;; [unrolled: 1-line block ×6, first 2 shown]
	v_lshlrev_b32_e32 v0, 1, v37
	s_wait_loadcnt_dscnt 0x305
	v_mul_f64_e32 v[56:57], v[22:23], v[6:7]
	s_wait_loadcnt_dscnt 0x204
	v_mul_f64_e32 v[58:59], v[26:27], v[10:11]
	v_mul_f64_e32 v[60:61], v[20:21], v[6:7]
	;; [unrolled: 1-line block ×3, first 2 shown]
	s_wait_dscnt 0x3
	v_mul_f64_e32 v[64:65], v[40:41], v[6:7]
	s_wait_dscnt 0x2
	v_mul_f64_e32 v[66:67], v[44:45], v[10:11]
	v_mul_f64_e32 v[6:7], v[38:39], v[6:7]
	v_mul_f64_e32 v[10:11], v[42:43], v[10:11]
	s_wait_loadcnt_dscnt 0x101
	v_mul_f64_e32 v[68:69], v[48:49], v[14:15]
	s_wait_loadcnt_dscnt 0x0
	v_mul_f64_e32 v[70:71], v[52:53], v[18:19]
	v_mul_f64_e32 v[14:15], v[46:47], v[14:15]
	;; [unrolled: 1-line block ×3, first 2 shown]
	v_fma_f64 v[20:21], v[20:21], v[4:5], -v[56:57]
	v_fma_f64 v[24:25], v[24:25], v[8:9], -v[58:59]
	v_fma_f64 v[22:23], v[22:23], v[4:5], v[60:61]
	v_fma_f64 v[26:27], v[26:27], v[8:9], v[62:63]
	v_fma_f64 v[38:39], v[38:39], v[4:5], -v[64:65]
	v_fma_f64 v[42:43], v[42:43], v[8:9], -v[66:67]
	v_fma_f64 v[40:41], v[40:41], v[4:5], v[6:7]
	v_fma_f64 v[44:45], v[44:45], v[8:9], v[10:11]
	;; [unrolled: 4-line block ×3, first 2 shown]
	ds_load_b128 v[4:7], v36
	ds_load_b128 v[8:11], v3
	ds_load_b128 v[12:15], v33 offset:672
	global_wb scope:SCOPE_SE
	s_wait_dscnt 0x0
	s_barrier_signal -1
	s_barrier_wait -1
	global_inv scope:SCOPE_SE
	v_add_f64_e32 v[64:65], v[4:5], v[20:21]
	v_add_f64_e32 v[18:19], v[20:21], v[24:25]
	v_add_f64_e64 v[76:77], v[20:21], -v[24:25]
	v_add_f64_e32 v[52:53], v[22:23], v[26:27]
	v_add_f64_e64 v[66:67], v[22:23], -v[26:27]
	v_add_f64_e32 v[56:57], v[38:39], v[42:43]
	v_add_f64_e32 v[22:23], v[6:7], v[22:23]
	;; [unrolled: 1-line block ×8, first 2 shown]
	v_add_f64_e64 v[40:41], v[40:41], -v[44:45]
	v_add_f64_e64 v[78:79], v[38:39], -v[42:43]
	v_add_f64_e32 v[72:73], v[12:13], v[46:47]
	v_add_f64_e64 v[48:49], v[48:49], -v[16:17]
	v_add_f64_e64 v[80:81], v[46:47], -v[50:51]
	v_fma_f64 v[18:19], v[18:19], -0.5, v[4:5]
	v_add_f64_e32 v[4:5], v[64:65], v[24:25]
	v_fma_f64 v[52:53], v[52:53], -0.5, v[6:7]
	v_fma_f64 v[56:57], v[56:57], -0.5, v[8:9]
	v_add_f64_e32 v[6:7], v[22:23], v[26:27]
	v_fma_f64 v[58:59], v[58:59], -0.5, v[10:11]
	v_add_f64_e32 v[8:9], v[68:69], v[42:43]
	v_fma_f64 v[60:61], v[60:61], -0.5, v[12:13]
	v_fma_f64 v[62:63], v[62:63], -0.5, v[14:15]
	v_add_f64_e32 v[14:15], v[74:75], v[16:17]
	v_add_f64_e32 v[10:11], v[70:71], v[44:45]
	v_add_f64_e32 v[12:13], v[72:73], v[50:51]
	v_lshlrev_b64_e32 v[50:51], 4, v[0:1]
	v_lshlrev_b32_e32 v0, 1, v2
	s_delay_alu instid0(VALU_DEP_2) | instskip(SKIP_1) | instid1(VALU_DEP_3)
	v_add_co_u32 v50, s0, s8, v50
	s_wait_alu 0xf1ff
	v_add_co_ci_u32_e64 v51, s0, s9, v51, s0
	v_fma_f64 v[16:17], v[66:67], s[4:5], v[18:19]
	v_fma_f64 v[20:21], v[66:67], s[10:11], v[18:19]
	;; [unrolled: 1-line block ×12, first 2 shown]
	v_lshlrev_b64_e32 v[52:53], 4, v[0:1]
	v_lshlrev_b32_e32 v0, 4, v82
	s_delay_alu instid0(VALU_DEP_1)
	v_add3_u32 v0, 0, v0, v35
	ds_store_b128 v33, v[4:7]
	ds_store_b128 v33, v[16:19] offset:336
	ds_store_b128 v33, v[20:23] offset:672
	;; [unrolled: 1-line block ×8, first 2 shown]
	global_wb scope:SCOPE_SE
	s_wait_dscnt 0x0
	s_barrier_signal -1
	s_barrier_wait -1
	global_inv scope:SCOPE_SE
	s_clause 0x1
	global_load_b128 v[4:7], v[54:55], off offset:912
	global_load_b128 v[8:11], v[54:55], off offset:896
	v_add_co_u32 v24, s0, s8, v52
	s_wait_alu 0xf1ff
	v_add_co_ci_u32_e64 v25, s0, s9, v53, s0
	s_clause 0x3
	global_load_b128 v[12:15], v[50:51], off offset:896
	global_load_b128 v[16:19], v[50:51], off offset:912
	;; [unrolled: 1-line block ×4, first 2 shown]
	ds_load_b128 v[37:40], v33 offset:1008
	ds_load_b128 v[41:44], v33 offset:2016
	;; [unrolled: 1-line block ×6, first 2 shown]
	s_wait_loadcnt_dscnt 0x504
	v_mul_f64_e32 v[63:64], v[43:44], v[6:7]
	s_wait_loadcnt 0x4
	v_mul_f64_e32 v[61:62], v[39:40], v[10:11]
	v_mul_f64_e32 v[10:11], v[37:38], v[10:11]
	;; [unrolled: 1-line block ×3, first 2 shown]
	s_wait_loadcnt_dscnt 0x303
	v_mul_f64_e32 v[65:66], v[47:48], v[14:15]
	s_wait_loadcnt_dscnt 0x202
	v_mul_f64_e32 v[67:68], v[51:52], v[18:19]
	v_mul_f64_e32 v[14:15], v[45:46], v[14:15]
	;; [unrolled: 1-line block ×3, first 2 shown]
	s_wait_loadcnt_dscnt 0x101
	v_mul_f64_e32 v[69:70], v[55:56], v[22:23]
	s_wait_loadcnt_dscnt 0x0
	v_mul_f64_e32 v[71:72], v[59:60], v[26:27]
	v_mul_f64_e32 v[22:23], v[53:54], v[22:23]
	;; [unrolled: 1-line block ×3, first 2 shown]
	v_fma_f64 v[41:42], v[41:42], v[4:5], -v[63:64]
	v_fma_f64 v[37:38], v[37:38], v[8:9], -v[61:62]
	v_fma_f64 v[39:40], v[39:40], v[8:9], v[10:11]
	v_fma_f64 v[43:44], v[43:44], v[4:5], v[6:7]
	v_fma_f64 v[45:46], v[45:46], v[12:13], -v[65:66]
	v_fma_f64 v[49:50], v[49:50], v[16:17], -v[67:68]
	v_fma_f64 v[47:48], v[47:48], v[12:13], v[14:15]
	v_fma_f64 v[16:17], v[51:52], v[16:17], v[18:19]
	;; [unrolled: 4-line block ×3, first 2 shown]
	ds_load_b128 v[4:7], v36
	ds_load_b128 v[8:11], v3
	ds_load_b128 v[12:15], v33 offset:672
	global_wb scope:SCOPE_SE
	s_wait_dscnt 0x0
	s_barrier_signal -1
	s_barrier_wait -1
	global_inv scope:SCOPE_SE
	v_add_f64_e32 v[24:25], v[37:38], v[41:42]
	v_add_f64_e32 v[35:36], v[4:5], v[37:38]
	;; [unrolled: 1-line block ×3, first 2 shown]
	v_add_f64_e64 v[61:62], v[39:40], -v[43:44]
	v_add_f64_e32 v[53:54], v[45:46], v[49:50]
	v_add_f64_e32 v[39:40], v[6:7], v[39:40]
	;; [unrolled: 1-line block ×5, first 2 shown]
	v_add_f64_e64 v[37:38], v[37:38], -v[41:42]
	v_add_f64_e32 v[59:60], v[20:21], v[22:23]
	v_add_f64_e32 v[69:70], v[14:15], v[20:21]
	v_add_f64_e32 v[63:64], v[8:9], v[45:46]
	v_add_f64_e64 v[47:48], v[47:48], -v[16:17]
	v_add_f64_e64 v[45:46], v[45:46], -v[49:50]
	v_add_f64_e32 v[67:68], v[12:13], v[18:19]
	v_add_f64_e64 v[71:72], v[20:21], -v[22:23]
	v_add_f64_e64 v[73:74], v[18:19], -v[51:52]
	v_fma_f64 v[24:25], v[24:25], -0.5, v[4:5]
	v_add_f64_e32 v[4:5], v[35:36], v[41:42]
	v_fma_f64 v[26:27], v[26:27], -0.5, v[6:7]
	v_fma_f64 v[53:54], v[53:54], -0.5, v[8:9]
	v_add_f64_e32 v[6:7], v[39:40], v[43:44]
	v_fma_f64 v[55:56], v[55:56], -0.5, v[10:11]
	v_add_f64_e32 v[10:11], v[65:66], v[16:17]
	v_fma_f64 v[57:58], v[57:58], -0.5, v[12:13]
	v_fma_f64 v[59:60], v[59:60], -0.5, v[14:15]
	v_add_f64_e32 v[14:15], v[69:70], v[22:23]
	v_add_f64_e32 v[8:9], v[63:64], v[49:50]
	;; [unrolled: 1-line block ×3, first 2 shown]
	v_fma_f64 v[16:17], v[61:62], s[4:5], v[24:25]
	v_fma_f64 v[20:21], v[61:62], s[10:11], v[24:25]
	;; [unrolled: 1-line block ×12, first 2 shown]
	ds_store_b128 v33, v[4:7]
	ds_store_b128 v33, v[16:19] offset:1008
	ds_store_b128 v33, v[20:23] offset:2016
	ds_store_b128 v3, v[8:11]
	ds_store_b128 v3, v[24:27] offset:1008
	ds_store_b128 v3, v[35:38] offset:2016
	;; [unrolled: 1-line block ×5, first 2 shown]
	global_wb scope:SCOPE_SE
	s_wait_dscnt 0x0
	s_barrier_signal -1
	s_barrier_wait -1
	global_inv scope:SCOPE_SE
	s_and_saveexec_b32 s0, vcc_lo
	s_cbranch_execz .LBB0_16
; %bb.15:
	v_mul_lo_u32 v0, s3, v30
	v_mul_lo_u32 v4, s2, v31
	v_mad_co_u64_u32 v[2:3], null, s2, v30, 0
	v_mov_b32_e32 v33, v1
	v_lshlrev_b64_e32 v[10:11], 4, v[28:29]
	v_lshl_add_u32 v30, v32, 4, v34
	s_delay_alu instid0(VALU_DEP_4) | instskip(SKIP_2) | instid1(VALU_DEP_3)
	v_add3_u32 v3, v3, v4, v0
	v_add_nc_u32_e32 v0, 21, v32
	v_lshlrev_b64_e32 v[12:13], 4, v[32:33]
	v_lshlrev_b64_e32 v[14:15], 4, v[2:3]
	ds_load_b128 v[2:5], v30
	ds_load_b128 v[6:9], v30 offset:336
	v_lshlrev_b64_e32 v[18:19], 4, v[0:1]
	v_add_nc_u32_e32 v0, 42, v32
	v_add_co_u32 v14, vcc_lo, s6, v14
	s_wait_alu 0xfffd
	v_add_co_ci_u32_e32 v15, vcc_lo, s7, v15, vcc_lo
	s_delay_alu instid0(VALU_DEP_3) | instskip(NEXT) | instid1(VALU_DEP_3)
	v_lshlrev_b64_e32 v[20:21], 4, v[0:1]
	v_add_co_u32 v31, vcc_lo, v14, v10
	s_wait_alu 0xfffd
	s_delay_alu instid0(VALU_DEP_3) | instskip(SKIP_1) | instid1(VALU_DEP_3)
	v_add_co_ci_u32_e32 v33, vcc_lo, v15, v11, vcc_lo
	v_add_nc_u32_e32 v0, 63, v32
	v_add_co_u32 v22, vcc_lo, v31, v12
	s_wait_alu 0xfffd
	s_delay_alu instid0(VALU_DEP_3)
	v_add_co_ci_u32_e32 v23, vcc_lo, v33, v13, vcc_lo
	ds_load_b128 v[10:13], v30 offset:672
	ds_load_b128 v[14:17], v30 offset:1008
	v_add_co_u32 v18, vcc_lo, v31, v18
	v_lshlrev_b64_e32 v[24:25], 4, v[0:1]
	v_add_nc_u32_e32 v0, 0x54, v32
	s_wait_alu 0xfffd
	v_add_co_ci_u32_e32 v19, vcc_lo, v33, v19, vcc_lo
	v_add_co_u32 v20, vcc_lo, v31, v20
	s_wait_alu 0xfffd
	v_add_co_ci_u32_e32 v21, vcc_lo, v33, v21, vcc_lo
	v_lshlrev_b64_e32 v[26:27], 4, v[0:1]
	v_add_nc_u32_e32 v0, 0x69, v32
	v_add_co_u32 v24, vcc_lo, v31, v24
	s_wait_alu 0xfffd
	v_add_co_ci_u32_e32 v25, vcc_lo, v33, v25, vcc_lo
	s_wait_dscnt 0x3
	global_store_b128 v[22:23], v[2:5], off
	s_wait_dscnt 0x2
	global_store_b128 v[18:19], v[6:9], off
	;; [unrolled: 2-line block ×4, first 2 shown]
	v_lshlrev_b64_e32 v[10:11], 4, v[0:1]
	v_add_co_u32 v22, vcc_lo, v31, v26
	v_add_nc_u32_e32 v0, 0x7e, v32
	s_wait_alu 0xfffd
	v_add_co_ci_u32_e32 v23, vcc_lo, v33, v27, vcc_lo
	s_delay_alu instid0(VALU_DEP_4)
	v_add_co_u32 v26, vcc_lo, v31, v10
	ds_load_b128 v[2:5], v30 offset:1344
	ds_load_b128 v[6:9], v30 offset:1680
	s_wait_alu 0xfffd
	v_add_co_ci_u32_e32 v27, vcc_lo, v33, v11, vcc_lo
	ds_load_b128 v[10:13], v30 offset:2016
	ds_load_b128 v[14:17], v30 offset:2352
	;; [unrolled: 1-line block ×3, first 2 shown]
	v_lshlrev_b64_e32 v[24:25], 4, v[0:1]
	v_add_nc_u32_e32 v0, 0x93, v32
	s_delay_alu instid0(VALU_DEP_1) | instskip(SKIP_1) | instid1(VALU_DEP_4)
	v_lshlrev_b64_e32 v[28:29], 4, v[0:1]
	v_add_nc_u32_e32 v0, 0xa8, v32
	v_add_co_u32 v24, vcc_lo, v31, v24
	s_wait_alu 0xfffd
	v_add_co_ci_u32_e32 v25, vcc_lo, v33, v25, vcc_lo
	s_delay_alu instid0(VALU_DEP_3) | instskip(SKIP_3) | instid1(VALU_DEP_3)
	v_lshlrev_b64_e32 v[0:1], 4, v[0:1]
	v_add_co_u32 v28, vcc_lo, v31, v28
	s_wait_alu 0xfffd
	v_add_co_ci_u32_e32 v29, vcc_lo, v33, v29, vcc_lo
	v_add_co_u32 v0, vcc_lo, v31, v0
	s_wait_alu 0xfffd
	v_add_co_ci_u32_e32 v1, vcc_lo, v33, v1, vcc_lo
	s_wait_dscnt 0x4
	global_store_b128 v[22:23], v[2:5], off
	s_wait_dscnt 0x3
	global_store_b128 v[26:27], v[6:9], off
	;; [unrolled: 2-line block ×5, first 2 shown]
.LBB0_16:
	s_nop 0
	s_sendmsg sendmsg(MSG_DEALLOC_VGPRS)
	s_endpgm
	.section	.rodata,"a",@progbits
	.p2align	6, 0x0
	.amdhsa_kernel fft_rtc_fwd_len189_factors_7_3_3_3_wgs_63_tpt_21_dp_op_CI_CI_unitstride_sbrr_dirReg
		.amdhsa_group_segment_fixed_size 0
		.amdhsa_private_segment_fixed_size 0
		.amdhsa_kernarg_size 104
		.amdhsa_user_sgpr_count 2
		.amdhsa_user_sgpr_dispatch_ptr 0
		.amdhsa_user_sgpr_queue_ptr 0
		.amdhsa_user_sgpr_kernarg_segment_ptr 1
		.amdhsa_user_sgpr_dispatch_id 0
		.amdhsa_user_sgpr_private_segment_size 0
		.amdhsa_wavefront_size32 1
		.amdhsa_uses_dynamic_stack 0
		.amdhsa_enable_private_segment 0
		.amdhsa_system_sgpr_workgroup_id_x 1
		.amdhsa_system_sgpr_workgroup_id_y 0
		.amdhsa_system_sgpr_workgroup_id_z 0
		.amdhsa_system_sgpr_workgroup_info 0
		.amdhsa_system_vgpr_workitem_id 0
		.amdhsa_next_free_vgpr 86
		.amdhsa_next_free_sgpr 39
		.amdhsa_reserve_vcc 1
		.amdhsa_float_round_mode_32 0
		.amdhsa_float_round_mode_16_64 0
		.amdhsa_float_denorm_mode_32 3
		.amdhsa_float_denorm_mode_16_64 3
		.amdhsa_fp16_overflow 0
		.amdhsa_workgroup_processor_mode 1
		.amdhsa_memory_ordered 1
		.amdhsa_forward_progress 0
		.amdhsa_round_robin_scheduling 0
		.amdhsa_exception_fp_ieee_invalid_op 0
		.amdhsa_exception_fp_denorm_src 0
		.amdhsa_exception_fp_ieee_div_zero 0
		.amdhsa_exception_fp_ieee_overflow 0
		.amdhsa_exception_fp_ieee_underflow 0
		.amdhsa_exception_fp_ieee_inexact 0
		.amdhsa_exception_int_div_zero 0
	.end_amdhsa_kernel
	.text
.Lfunc_end0:
	.size	fft_rtc_fwd_len189_factors_7_3_3_3_wgs_63_tpt_21_dp_op_CI_CI_unitstride_sbrr_dirReg, .Lfunc_end0-fft_rtc_fwd_len189_factors_7_3_3_3_wgs_63_tpt_21_dp_op_CI_CI_unitstride_sbrr_dirReg
                                        ; -- End function
	.section	.AMDGPU.csdata,"",@progbits
; Kernel info:
; codeLenInByte = 6776
; NumSgprs: 41
; NumVgprs: 86
; ScratchSize: 0
; MemoryBound: 0
; FloatMode: 240
; IeeeMode: 1
; LDSByteSize: 0 bytes/workgroup (compile time only)
; SGPRBlocks: 5
; VGPRBlocks: 10
; NumSGPRsForWavesPerEU: 41
; NumVGPRsForWavesPerEU: 86
; Occupancy: 16
; WaveLimiterHint : 1
; COMPUTE_PGM_RSRC2:SCRATCH_EN: 0
; COMPUTE_PGM_RSRC2:USER_SGPR: 2
; COMPUTE_PGM_RSRC2:TRAP_HANDLER: 0
; COMPUTE_PGM_RSRC2:TGID_X_EN: 1
; COMPUTE_PGM_RSRC2:TGID_Y_EN: 0
; COMPUTE_PGM_RSRC2:TGID_Z_EN: 0
; COMPUTE_PGM_RSRC2:TIDIG_COMP_CNT: 0
	.text
	.p2alignl 7, 3214868480
	.fill 96, 4, 3214868480
	.type	__hip_cuid_e54efa6db0269c1c,@object ; @__hip_cuid_e54efa6db0269c1c
	.section	.bss,"aw",@nobits
	.globl	__hip_cuid_e54efa6db0269c1c
__hip_cuid_e54efa6db0269c1c:
	.byte	0                               ; 0x0
	.size	__hip_cuid_e54efa6db0269c1c, 1

	.ident	"AMD clang version 19.0.0git (https://github.com/RadeonOpenCompute/llvm-project roc-6.4.0 25133 c7fe45cf4b819c5991fe208aaa96edf142730f1d)"
	.section	".note.GNU-stack","",@progbits
	.addrsig
	.addrsig_sym __hip_cuid_e54efa6db0269c1c
	.amdgpu_metadata
---
amdhsa.kernels:
  - .args:
      - .actual_access:  read_only
        .address_space:  global
        .offset:         0
        .size:           8
        .value_kind:     global_buffer
      - .offset:         8
        .size:           8
        .value_kind:     by_value
      - .actual_access:  read_only
        .address_space:  global
        .offset:         16
        .size:           8
        .value_kind:     global_buffer
      - .actual_access:  read_only
        .address_space:  global
        .offset:         24
        .size:           8
        .value_kind:     global_buffer
      - .actual_access:  read_only
        .address_space:  global
        .offset:         32
        .size:           8
        .value_kind:     global_buffer
      - .offset:         40
        .size:           8
        .value_kind:     by_value
      - .actual_access:  read_only
        .address_space:  global
        .offset:         48
        .size:           8
        .value_kind:     global_buffer
      - .actual_access:  read_only
        .address_space:  global
        .offset:         56
        .size:           8
        .value_kind:     global_buffer
      - .offset:         64
        .size:           4
        .value_kind:     by_value
      - .actual_access:  read_only
        .address_space:  global
        .offset:         72
        .size:           8
        .value_kind:     global_buffer
      - .actual_access:  read_only
        .address_space:  global
        .offset:         80
        .size:           8
        .value_kind:     global_buffer
      - .actual_access:  read_only
        .address_space:  global
        .offset:         88
        .size:           8
        .value_kind:     global_buffer
      - .actual_access:  write_only
        .address_space:  global
        .offset:         96
        .size:           8
        .value_kind:     global_buffer
    .group_segment_fixed_size: 0
    .kernarg_segment_align: 8
    .kernarg_segment_size: 104
    .language:       OpenCL C
    .language_version:
      - 2
      - 0
    .max_flat_workgroup_size: 63
    .name:           fft_rtc_fwd_len189_factors_7_3_3_3_wgs_63_tpt_21_dp_op_CI_CI_unitstride_sbrr_dirReg
    .private_segment_fixed_size: 0
    .sgpr_count:     41
    .sgpr_spill_count: 0
    .symbol:         fft_rtc_fwd_len189_factors_7_3_3_3_wgs_63_tpt_21_dp_op_CI_CI_unitstride_sbrr_dirReg.kd
    .uniform_work_group_size: 1
    .uses_dynamic_stack: false
    .vgpr_count:     86
    .vgpr_spill_count: 0
    .wavefront_size: 32
    .workgroup_processor_mode: 1
amdhsa.target:   amdgcn-amd-amdhsa--gfx1201
amdhsa.version:
  - 1
  - 2
...

	.end_amdgpu_metadata
